;; amdgpu-corpus repo=ROCm/rocFFT kind=compiled arch=gfx1030 opt=O3
	.text
	.amdgcn_target "amdgcn-amd-amdhsa--gfx1030"
	.amdhsa_code_object_version 6
	.protected	fft_rtc_fwd_len650_factors_10_5_13_wgs_195_tpt_65_dp_op_CI_CI_unitstride_sbrr_R2C_dirReg ; -- Begin function fft_rtc_fwd_len650_factors_10_5_13_wgs_195_tpt_65_dp_op_CI_CI_unitstride_sbrr_R2C_dirReg
	.globl	fft_rtc_fwd_len650_factors_10_5_13_wgs_195_tpt_65_dp_op_CI_CI_unitstride_sbrr_R2C_dirReg
	.p2align	8
	.type	fft_rtc_fwd_len650_factors_10_5_13_wgs_195_tpt_65_dp_op_CI_CI_unitstride_sbrr_R2C_dirReg,@function
fft_rtc_fwd_len650_factors_10_5_13_wgs_195_tpt_65_dp_op_CI_CI_unitstride_sbrr_R2C_dirReg: ; @fft_rtc_fwd_len650_factors_10_5_13_wgs_195_tpt_65_dp_op_CI_CI_unitstride_sbrr_R2C_dirReg
; %bb.0:
	s_load_dwordx4 s[12:15], s[4:5], 0x0
	v_mul_u32_u24_e32 v1, 0x3f1, v0
	s_clause 0x1
	s_load_dwordx4 s[8:11], s[4:5], 0x58
	s_load_dwordx4 s[16:19], s[4:5], 0x18
	v_mov_b32_e32 v5, 0
	v_lshrrev_b32_e32 v3, 16, v1
	v_mov_b32_e32 v1, 0
	v_mov_b32_e32 v2, 0
	v_mad_u64_u32 v[3:4], null, s6, 3, v[3:4]
	v_mov_b32_e32 v4, v5
	v_mov_b32_e32 v53, v2
	;; [unrolled: 1-line block ×5, first 2 shown]
	s_waitcnt lgkmcnt(0)
	v_cmp_lt_u64_e64 s0, s[14:15], 2
	s_and_b32 vcc_lo, exec_lo, s0
	s_cbranch_vccnz .LBB0_8
; %bb.1:
	s_load_dwordx2 s[0:1], s[4:5], 0x10
	v_mov_b32_e32 v1, 0
	v_mov_b32_e32 v2, 0
	s_add_u32 s2, s18, 8
	v_mov_b32_e32 v8, v4
	s_addc_u32 s3, s19, 0
	v_mov_b32_e32 v7, v3
	v_mov_b32_e32 v53, v2
	s_add_u32 s6, s16, 8
	v_mov_b32_e32 v52, v1
	s_addc_u32 s7, s17, 0
	s_mov_b64 s[22:23], 1
	s_waitcnt lgkmcnt(0)
	s_add_u32 s20, s0, 8
	s_addc_u32 s21, s1, 0
.LBB0_2:                                ; =>This Inner Loop Header: Depth=1
	s_load_dwordx2 s[24:25], s[20:21], 0x0
                                        ; implicit-def: $vgpr56_vgpr57
	s_mov_b32 s0, exec_lo
	s_waitcnt lgkmcnt(0)
	v_or_b32_e32 v6, s25, v8
	v_cmpx_ne_u64_e32 0, v[5:6]
	s_xor_b32 s1, exec_lo, s0
	s_cbranch_execz .LBB0_4
; %bb.3:                                ;   in Loop: Header=BB0_2 Depth=1
	v_cvt_f32_u32_e32 v4, s24
	v_cvt_f32_u32_e32 v6, s25
	s_sub_u32 s0, 0, s24
	s_subb_u32 s26, 0, s25
	v_fmac_f32_e32 v4, 0x4f800000, v6
	v_rcp_f32_e32 v4, v4
	v_mul_f32_e32 v4, 0x5f7ffffc, v4
	v_mul_f32_e32 v6, 0x2f800000, v4
	v_trunc_f32_e32 v6, v6
	v_fmac_f32_e32 v4, 0xcf800000, v6
	v_cvt_u32_f32_e32 v6, v6
	v_cvt_u32_f32_e32 v4, v4
	v_mul_lo_u32 v9, s0, v6
	v_mul_hi_u32 v10, s0, v4
	v_mul_lo_u32 v11, s26, v4
	v_add_nc_u32_e32 v9, v10, v9
	v_mul_lo_u32 v10, s0, v4
	v_add_nc_u32_e32 v9, v9, v11
	v_mul_hi_u32 v11, v4, v10
	v_mul_lo_u32 v12, v4, v9
	v_mul_hi_u32 v13, v4, v9
	v_mul_hi_u32 v14, v6, v10
	v_mul_lo_u32 v10, v6, v10
	v_mul_hi_u32 v15, v6, v9
	v_mul_lo_u32 v9, v6, v9
	v_add_co_u32 v11, vcc_lo, v11, v12
	v_add_co_ci_u32_e32 v12, vcc_lo, 0, v13, vcc_lo
	v_add_co_u32 v10, vcc_lo, v11, v10
	v_add_co_ci_u32_e32 v10, vcc_lo, v12, v14, vcc_lo
	v_add_co_ci_u32_e32 v11, vcc_lo, 0, v15, vcc_lo
	v_add_co_u32 v9, vcc_lo, v10, v9
	v_add_co_ci_u32_e32 v10, vcc_lo, 0, v11, vcc_lo
	v_add_co_u32 v4, vcc_lo, v4, v9
	v_add_co_ci_u32_e32 v6, vcc_lo, v6, v10, vcc_lo
	v_mul_hi_u32 v9, s0, v4
	v_mul_lo_u32 v11, s26, v4
	v_mul_lo_u32 v10, s0, v6
	v_add_nc_u32_e32 v9, v9, v10
	v_mul_lo_u32 v10, s0, v4
	v_add_nc_u32_e32 v9, v9, v11
	v_mul_hi_u32 v11, v4, v10
	v_mul_lo_u32 v12, v4, v9
	v_mul_hi_u32 v13, v4, v9
	v_mul_hi_u32 v14, v6, v10
	v_mul_lo_u32 v10, v6, v10
	v_mul_hi_u32 v15, v6, v9
	v_mul_lo_u32 v9, v6, v9
	v_add_co_u32 v11, vcc_lo, v11, v12
	v_add_co_ci_u32_e32 v12, vcc_lo, 0, v13, vcc_lo
	v_add_co_u32 v10, vcc_lo, v11, v10
	v_add_co_ci_u32_e32 v10, vcc_lo, v12, v14, vcc_lo
	v_add_co_ci_u32_e32 v11, vcc_lo, 0, v15, vcc_lo
	v_add_co_u32 v9, vcc_lo, v10, v9
	v_add_co_ci_u32_e32 v10, vcc_lo, 0, v11, vcc_lo
	v_add_co_u32 v4, vcc_lo, v4, v9
	v_add_co_ci_u32_e32 v6, vcc_lo, v6, v10, vcc_lo
	v_mul_hi_u32 v15, v7, v4
	v_mad_u64_u32 v[11:12], null, v8, v4, 0
	v_mad_u64_u32 v[9:10], null, v7, v6, 0
	;; [unrolled: 1-line block ×3, first 2 shown]
	v_add_co_u32 v4, vcc_lo, v15, v9
	v_add_co_ci_u32_e32 v6, vcc_lo, 0, v10, vcc_lo
	v_add_co_u32 v4, vcc_lo, v4, v11
	v_add_co_ci_u32_e32 v4, vcc_lo, v6, v12, vcc_lo
	v_add_co_ci_u32_e32 v6, vcc_lo, 0, v14, vcc_lo
	v_add_co_u32 v4, vcc_lo, v4, v13
	v_add_co_ci_u32_e32 v6, vcc_lo, 0, v6, vcc_lo
	v_mul_lo_u32 v11, s25, v4
	v_mad_u64_u32 v[9:10], null, s24, v4, 0
	v_mul_lo_u32 v12, s24, v6
	v_sub_co_u32 v9, vcc_lo, v7, v9
	v_add3_u32 v10, v10, v12, v11
	v_sub_nc_u32_e32 v11, v8, v10
	v_subrev_co_ci_u32_e64 v11, s0, s25, v11, vcc_lo
	v_add_co_u32 v12, s0, v4, 2
	v_add_co_ci_u32_e64 v13, s0, 0, v6, s0
	v_sub_co_u32 v14, s0, v9, s24
	v_sub_co_ci_u32_e32 v10, vcc_lo, v8, v10, vcc_lo
	v_subrev_co_ci_u32_e64 v11, s0, 0, v11, s0
	v_cmp_le_u32_e32 vcc_lo, s24, v14
	v_cmp_eq_u32_e64 s0, s25, v10
	v_cndmask_b32_e64 v14, 0, -1, vcc_lo
	v_cmp_le_u32_e32 vcc_lo, s25, v11
	v_cndmask_b32_e64 v15, 0, -1, vcc_lo
	v_cmp_le_u32_e32 vcc_lo, s24, v9
	;; [unrolled: 2-line block ×3, first 2 shown]
	v_cndmask_b32_e64 v16, 0, -1, vcc_lo
	v_cmp_eq_u32_e32 vcc_lo, s25, v11
	v_cndmask_b32_e64 v9, v16, v9, s0
	v_cndmask_b32_e32 v11, v15, v14, vcc_lo
	v_add_co_u32 v14, vcc_lo, v4, 1
	v_add_co_ci_u32_e32 v15, vcc_lo, 0, v6, vcc_lo
	v_cmp_ne_u32_e32 vcc_lo, 0, v11
	v_cndmask_b32_e32 v10, v15, v13, vcc_lo
	v_cndmask_b32_e32 v11, v14, v12, vcc_lo
	v_cmp_ne_u32_e32 vcc_lo, 0, v9
	v_cndmask_b32_e32 v57, v6, v10, vcc_lo
	v_cndmask_b32_e32 v56, v4, v11, vcc_lo
.LBB0_4:                                ;   in Loop: Header=BB0_2 Depth=1
	s_andn2_saveexec_b32 s0, s1
	s_cbranch_execz .LBB0_6
; %bb.5:                                ;   in Loop: Header=BB0_2 Depth=1
	v_cvt_f32_u32_e32 v4, s24
	s_sub_i32 s1, 0, s24
	v_mov_b32_e32 v57, v5
	v_rcp_iflag_f32_e32 v4, v4
	v_mul_f32_e32 v4, 0x4f7ffffe, v4
	v_cvt_u32_f32_e32 v4, v4
	v_mul_lo_u32 v6, s1, v4
	v_mul_hi_u32 v6, v4, v6
	v_add_nc_u32_e32 v4, v4, v6
	v_mul_hi_u32 v4, v7, v4
	v_mul_lo_u32 v6, v4, s24
	v_add_nc_u32_e32 v9, 1, v4
	v_sub_nc_u32_e32 v6, v7, v6
	v_subrev_nc_u32_e32 v10, s24, v6
	v_cmp_le_u32_e32 vcc_lo, s24, v6
	v_cndmask_b32_e32 v6, v6, v10, vcc_lo
	v_cndmask_b32_e32 v4, v4, v9, vcc_lo
	v_cmp_le_u32_e32 vcc_lo, s24, v6
	v_add_nc_u32_e32 v9, 1, v4
	v_cndmask_b32_e32 v56, v4, v9, vcc_lo
.LBB0_6:                                ;   in Loop: Header=BB0_2 Depth=1
	s_or_b32 exec_lo, exec_lo, s0
	v_mul_lo_u32 v4, v57, s24
	v_mul_lo_u32 v6, v56, s25
	s_load_dwordx2 s[0:1], s[6:7], 0x0
	v_mad_u64_u32 v[9:10], null, v56, s24, 0
	s_load_dwordx2 s[24:25], s[2:3], 0x0
	s_add_u32 s22, s22, 1
	s_addc_u32 s23, s23, 0
	s_add_u32 s2, s2, 8
	s_addc_u32 s3, s3, 0
	s_add_u32 s6, s6, 8
	v_add3_u32 v4, v10, v6, v4
	v_sub_co_u32 v6, vcc_lo, v7, v9
	s_addc_u32 s7, s7, 0
	s_add_u32 s20, s20, 8
	v_sub_co_ci_u32_e32 v4, vcc_lo, v8, v4, vcc_lo
	s_addc_u32 s21, s21, 0
	s_waitcnt lgkmcnt(0)
	v_mul_lo_u32 v7, s0, v4
	v_mul_lo_u32 v8, s1, v6
	v_mad_u64_u32 v[1:2], null, s0, v6, v[1:2]
	v_mul_lo_u32 v4, s24, v4
	v_mul_lo_u32 v9, s25, v6
	v_mad_u64_u32 v[52:53], null, s24, v6, v[52:53]
	v_cmp_ge_u64_e64 s0, s[22:23], s[14:15]
	v_add3_u32 v2, v8, v2, v7
	v_add3_u32 v53, v9, v53, v4
	s_and_b32 vcc_lo, exec_lo, s0
	s_cbranch_vccnz .LBB0_8
; %bb.7:                                ;   in Loop: Header=BB0_2 Depth=1
	v_mov_b32_e32 v7, v56
	v_mov_b32_e32 v8, v57
	s_branch .LBB0_2
.LBB0_8:
	s_load_dwordx2 s[0:1], s[4:5], 0x28
	v_mul_hi_u32 v4, 0xaaaaaaab, v3
	s_lshl_b64 s[4:5], s[14:15], 3
                                        ; implicit-def: $vgpr54
                                        ; implicit-def: $vgpr58
	s_add_u32 s2, s18, s4
	s_addc_u32 s3, s19, s5
	v_lshrrev_b32_e32 v4, 1, v4
	v_lshl_add_u32 v5, v4, 1, v4
	v_mul_hi_u32 v4, 0x3f03f04, v0
	v_sub_nc_u32_e32 v3, v3, v5
	s_waitcnt lgkmcnt(0)
	v_cmp_gt_u64_e32 vcc_lo, s[0:1], v[56:57]
	v_cmp_le_u64_e64 s0, s[0:1], v[56:57]
	s_and_saveexec_b32 s1, s0
	s_xor_b32 s0, exec_lo, s1
; %bb.9:
	v_mul_u32_u24_e32 v1, 0x41, v4
                                        ; implicit-def: $vgpr4
	v_sub_nc_u32_e32 v54, v0, v1
                                        ; implicit-def: $vgpr0
                                        ; implicit-def: $vgpr1_vgpr2
	v_add_nc_u32_e32 v58, 0x41, v54
; %bb.10:
	s_or_saveexec_b32 s1, s0
	v_mul_u32_u24_e32 v3, 0x28b, v3
	v_lshlrev_b32_e32 v8, 4, v3
	s_xor_b32 exec_lo, exec_lo, s1
	s_cbranch_execz .LBB0_12
; %bb.11:
	s_add_u32 s4, s16, s4
	s_addc_u32 s5, s17, s5
	v_lshlrev_b64 v[1:2], 4, v[1:2]
	s_load_dwordx2 s[4:5], s[4:5], 0x0
	s_waitcnt lgkmcnt(0)
	v_mul_lo_u32 v3, s5, v56
	v_mul_lo_u32 v7, s4, v57
	v_mad_u64_u32 v[5:6], null, s4, v56, 0
	v_add3_u32 v6, v6, v7, v3
	v_mul_u32_u24_e32 v7, 0x41, v4
	v_lshlrev_b64 v[3:4], 4, v[5:6]
	v_sub_nc_u32_e32 v54, v0, v7
	v_lshlrev_b32_e32 v41, 4, v54
	v_add_co_u32 v0, s0, s8, v3
	v_add_co_ci_u32_e64 v3, s0, s9, v4, s0
	v_add_nc_u32_e32 v58, 0x41, v54
	v_add_co_u32 v0, s0, v0, v1
	v_add_co_ci_u32_e64 v1, s0, v3, v2, s0
	v_add_co_u32 v9, s0, v0, v41
	v_add_co_ci_u32_e64 v10, s0, 0, v1, s0
	s_clause 0x1
	global_load_dwordx4 v[0:3], v[9:10], off
	global_load_dwordx4 v[4:7], v[9:10], off offset:1040
	v_add_co_u32 v13, s0, 0x800, v9
	v_add_co_ci_u32_e64 v14, s0, 0, v10, s0
	v_add_co_u32 v21, s0, 0x1000, v9
	v_add_co_ci_u32_e64 v22, s0, 0, v10, s0
	;; [unrolled: 2-line block ×4, first 2 shown]
	s_clause 0x7
	global_load_dwordx4 v[9:12], v[13:14], off offset:32
	global_load_dwordx4 v[13:16], v[13:14], off offset:1072
	;; [unrolled: 1-line block ×8, first 2 shown]
	v_add3_u32 v41, 0, v8, v41
	s_waitcnt vmcnt(9)
	ds_write_b128 v41, v[0:3]
	s_waitcnt vmcnt(8)
	ds_write_b128 v41, v[4:7] offset:1040
	s_waitcnt vmcnt(7)
	ds_write_b128 v41, v[9:12] offset:2080
	;; [unrolled: 2-line block ×9, first 2 shown]
.LBB0_12:
	s_or_b32 exec_lo, exec_lo, s1
	v_lshlrev_b32_e32 v55, 4, v54
	s_load_dwordx2 s[2:3], s[2:3], 0x0
	s_waitcnt lgkmcnt(0)
	s_barrier
	buffer_gl0_inv
	v_add3_u32 v147, 0, v55, v8
	v_add_nc_u32_e32 v145, 0, v8
	s_mov_b32 s8, 0x134454ff
	s_mov_b32 s9, 0x3fee6f0e
	;; [unrolled: 1-line block ×3, first 2 shown]
	ds_read_b128 v[9:12], v147 offset:3120
	ds_read_b128 v[13:16], v147 offset:5200
	;; [unrolled: 1-line block ×4, first 2 shown]
	v_add_nc_u32_e32 v146, v145, v55
	ds_read_b128 v[21:24], v147 offset:4160
	ds_read_b128 v[25:28], v147 offset:6240
	;; [unrolled: 1-line block ×5, first 2 shown]
	ds_read_b128 v[37:40], v146
	s_mov_b32 s14, s8
	s_mov_b32 s0, 0x4755a5e
	;; [unrolled: 1-line block ×9, first 2 shown]
	v_and_b32_e32 v51, 0xff, v54
	s_waitcnt lgkmcnt(0)
	s_barrier
	v_add_f64 v[87:88], v[9:10], -v[13:14]
	v_add_f64 v[41:42], v[13:14], v[17:18]
	v_add_f64 v[43:44], v[11:12], v[2:3]
	;; [unrolled: 1-line block ×4, first 2 shown]
	v_add_f64 v[61:62], v[11:12], -v[2:3]
	v_add_f64 v[63:64], v[13:14], -v[17:18]
	;; [unrolled: 1-line block ×4, first 2 shown]
	v_add_f64 v[49:50], v[21:22], v[25:26]
	v_add_f64 v[59:60], v[29:30], v[4:5]
	;; [unrolled: 1-line block ×3, first 2 shown]
	v_add_f64 v[91:92], v[0:1], -v[17:18]
	v_add_f64 v[67:68], v[31:32], v[6:7]
	v_add_f64 v[89:90], v[15:16], -v[11:12]
	v_add_f64 v[93:94], v[19:20], -v[2:3]
	;; [unrolled: 1-line block ×6, first 2 shown]
	v_add_f64 v[71:72], v[37:38], v[29:30]
	v_add_f64 v[73:74], v[39:40], v[31:32]
	;; [unrolled: 1-line block ×3, first 2 shown]
	v_fma_f64 v[41:42], v[41:42], -0.5, v[33:34]
	v_fma_f64 v[43:44], v[43:44], -0.5, v[35:36]
	;; [unrolled: 1-line block ×4, first 2 shown]
	v_add_f64 v[11:12], v[35:36], v[11:12]
	v_add_f64 v[75:76], v[31:32], -v[6:7]
	v_add_f64 v[77:78], v[29:30], -v[21:22]
	;; [unrolled: 1-line block ×6, first 2 shown]
	v_fma_f64 v[35:36], v[49:50], -0.5, v[37:38]
	v_fma_f64 v[37:38], v[59:60], -0.5, v[37:38]
	v_fma_f64 v[49:50], v[65:66], -0.5, v[39:40]
	v_add_f64 v[59:60], v[87:88], v[91:92]
	v_add_f64 v[95:96], v[21:22], -v[25:26]
	v_add_f64 v[115:116], v[25:26], -v[4:5]
	v_add_f64 v[65:66], v[89:90], v[93:94]
	v_fma_f64 v[39:40], v[67:68], -0.5, v[39:40]
	v_add_f64 v[67:68], v[103:104], v[105:106]
	v_add_f64 v[83:84], v[31:32], -v[23:24]
	v_add_f64 v[33:34], v[6:7], -v[27:28]
	v_fma_f64 v[97:98], v[61:62], s[8:9], v[41:42]
	v_fma_f64 v[99:100], v[63:64], s[8:9], v[43:44]
	;; [unrolled: 1-line block ×8, first 2 shown]
	v_add_f64 v[31:32], v[23:24], -v[31:32]
	v_add_f64 v[21:22], v[71:72], v[21:22]
	v_add_f64 v[23:24], v[73:74], v[23:24]
	;; [unrolled: 1-line block ×5, first 2 shown]
	v_fma_f64 v[71:72], v[75:76], s[8:9], v[35:36]
	v_fma_f64 v[35:36], v[75:76], s[14:15], v[35:36]
	v_fma_f64 v[73:74], v[85:86], s[14:15], v[37:38]
	v_fma_f64 v[77:78], v[29:30], s[14:15], v[49:50]
	v_add_f64 v[91:92], v[27:28], -v[6:7]
	v_add_f64 v[15:16], v[81:82], v[115:116]
	v_fma_f64 v[37:38], v[85:86], s[8:9], v[37:38]
	v_fma_f64 v[81:82], v[95:96], s[8:9], v[39:40]
	;; [unrolled: 1-line block ×7, first 2 shown]
	v_add_f64 v[61:62], v[109:110], v[111:112]
	v_fma_f64 v[41:42], v[69:70], s[6:7], v[41:42]
	v_fma_f64 v[69:70], v[63:64], s[0:1], v[113:114]
	;; [unrolled: 1-line block ×3, first 2 shown]
	v_add_f64 v[33:34], v[83:84], v[33:34]
	v_fma_f64 v[39:40], v[95:96], s[14:15], v[39:40]
	v_fma_f64 v[49:50], v[29:30], s[8:9], v[49:50]
	v_add_f64 v[21:22], v[21:22], v[25:26]
	v_add_f64 v[23:24], v[23:24], v[27:28]
	;; [unrolled: 1-line block ×4, first 2 shown]
	v_fma_f64 v[17:18], v[85:86], s[0:1], v[71:72]
	v_fma_f64 v[19:20], v[85:86], s[6:7], v[35:36]
	;; [unrolled: 1-line block ×4, first 2 shown]
	v_add_f64 v[31:32], v[31:32], v[91:92]
	v_fma_f64 v[37:38], v[75:76], s[6:7], v[37:38]
	v_fma_f64 v[63:64], v[59:60], s[4:5], v[87:88]
	;; [unrolled: 1-line block ×10, first 2 shown]
	buffer_gl0_inv
	v_fma_f64 v[29:30], v[29:30], s[0:1], v[39:40]
	v_fma_f64 v[49:50], v[95:96], s[0:1], v[49:50]
	v_add_f64 v[21:22], v[21:22], v[4:5]
	v_add_f64 v[6:7], v[23:24], v[6:7]
	;; [unrolled: 1-line block ×4, first 2 shown]
	v_fma_f64 v[75:76], v[13:14], s[4:5], v[17:18]
	v_fma_f64 v[77:78], v[13:14], s[4:5], v[19:20]
	;; [unrolled: 1-line block ×4, first 2 shown]
	v_mul_lo_u16 v0, 0xcd, v51
	v_and_b32_e32 v1, 0xff, v58
	v_mul_f64 v[47:48], v[63:64], s[16:17]
	v_mul_f64 v[63:64], v[63:64], s[6:7]
	;; [unrolled: 1-line block ×8, first 2 shown]
	v_lshrrev_b16 v0, 11, v0
	v_mul_lo_u16 v1, 0xcd, v1
	v_lshl_add_u32 v148, v58, 4, v145
	v_fma_f64 v[49:50], v[33:34], s[4:5], v[49:50]
	v_mov_b32_e32 v113, 4
	v_add_f64 v[2:3], v[21:22], v[9:10]
	v_add_f64 v[4:5], v[6:7], v[23:24]
	v_add_f64 v[10:11], v[21:22], -v[9:10]
	v_add_f64 v[12:13], v[6:7], -v[23:24]
	v_mul_lo_u16 v6, v0, 10
	v_lshrrev_b16 v1, 11, v1
	v_mov_b32_e32 v7, 6
	v_fma_f64 v[27:28], v[35:36], s[0:1], v[47:48]
	v_fma_f64 v[35:36], v[35:36], s[16:17], v[63:64]
	;; [unrolled: 1-line block ×6, first 2 shown]
	v_fma_f64 v[43:44], v[43:44], s[8:9], -v[67:68]
	v_fma_f64 v[63:64], v[31:32], s[4:5], v[29:30]
	v_fma_f64 v[65:66], v[83:84], s[14:15], -v[71:72]
	v_fma_f64 v[59:60], v[59:60], s[0:1], -v[39:40]
	;; [unrolled: 1-line block ×3, first 2 shown]
	v_sub_nc_u16 v9, v54, v6
	v_mul_lo_u16 v6, v1, 10
	v_add_f64 v[14:15], v[75:76], v[27:28]
	v_add_f64 v[16:17], v[25:26], v[35:36]
	;; [unrolled: 1-line block ×3, first 2 shown]
	v_add_f64 v[22:23], v[75:76], -v[27:28]
	v_add_f64 v[24:25], v[25:26], -v[35:36]
	v_add_f64 v[20:21], v[37:38], v[61:62]
	v_add_f64 v[26:27], v[47:48], v[43:44]
	v_add_f64 v[32:33], v[37:38], -v[61:62]
	v_add_f64 v[28:29], v[63:64], v[65:66]
	v_add_f64 v[34:35], v[77:78], v[59:60]
	v_add_f64 v[36:37], v[49:50], v[67:68]
	v_add_f64 v[30:31], v[81:82], -v[45:46]
	v_add_f64 v[38:39], v[47:48], -v[43:44]
	;; [unrolled: 1-line block ×5, first 2 shown]
	v_mad_u32_u24 v46, 0x90, v54, v147
	v_lshlrev_b32_sdwa v47, v7, v9 dst_sel:DWORD dst_unused:UNUSED_PAD src0_sel:DWORD src1_sel:BYTE_0
	v_lshlrev_b32_sdwa v9, v113, v9 dst_sel:DWORD dst_unused:UNUSED_PAD src0_sel:DWORD src1_sel:BYTE_0
	ds_write_b128 v46, v[2:5]
	ds_write_b128 v46, v[10:13] offset:80
	ds_write_b128 v46, v[14:17] offset:16
	;; [unrolled: 1-line block ×9, first 2 shown]
	v_sub_nc_u16 v10, v58, v6
	s_waitcnt lgkmcnt(0)
	s_barrier
	buffer_gl0_inv
	s_clause 0x1
	global_load_dwordx4 v[2:5], v47, s[12:13]
	global_load_dwordx4 v[11:14], v47, s[12:13] offset:16
	v_lshlrev_b32_sdwa v6, v7, v10 dst_sel:DWORD dst_unused:UNUSED_PAD src0_sel:DWORD src1_sel:BYTE_0
	s_clause 0x5
	global_load_dwordx4 v[15:18], v47, s[12:13] offset:32
	global_load_dwordx4 v[19:22], v47, s[12:13] offset:48
	global_load_dwordx4 v[23:26], v6, s[12:13]
	global_load_dwordx4 v[27:30], v6, s[12:13] offset:16
	global_load_dwordx4 v[31:34], v6, s[12:13] offset:32
	global_load_dwordx4 v[35:38], v6, s[12:13] offset:48
	ds_read_b128 v[39:42], v147 offset:2080
	ds_read_b128 v[43:46], v147 offset:4160
	;; [unrolled: 1-line block ×7, first 2 shown]
	ds_read_b128 v[75:78], v146
	ds_read_b128 v[79:82], v147 offset:9360
	v_lshlrev_b32_sdwa v10, v113, v10 dst_sel:DWORD dst_unused:UNUSED_PAD src0_sel:DWORD src1_sel:BYTE_0
	s_waitcnt vmcnt(7) lgkmcnt(8)
	v_mul_f64 v[83:84], v[41:42], v[4:5]
	v_mul_f64 v[85:86], v[39:40], v[4:5]
	ds_read_b128 v[4:7], v148
	s_waitcnt vmcnt(6) lgkmcnt(8)
	v_mul_f64 v[87:88], v[45:46], v[13:14]
	v_mul_f64 v[13:14], v[43:44], v[13:14]
	s_waitcnt vmcnt(5) lgkmcnt(7)
	v_mul_f64 v[89:90], v[49:50], v[17:18]
	s_waitcnt vmcnt(4) lgkmcnt(6)
	v_mul_f64 v[91:92], v[61:62], v[21:22]
	v_mul_f64 v[17:18], v[47:48], v[17:18]
	v_mul_f64 v[21:22], v[59:60], v[21:22]
	s_waitcnt vmcnt(3) lgkmcnt(5)
	v_mul_f64 v[93:94], v[65:66], v[25:26]
	v_mul_f64 v[25:26], v[63:64], v[25:26]
	s_waitcnt vmcnt(2) lgkmcnt(4)
	v_mul_f64 v[95:96], v[69:70], v[29:30]
	v_mul_f64 v[29:30], v[67:68], v[29:30]
	;; [unrolled: 3-line block ×4, first 2 shown]
	s_waitcnt lgkmcnt(0)
	s_barrier
	buffer_gl0_inv
	v_fma_f64 v[39:40], v[39:40], v[2:3], -v[83:84]
	v_fma_f64 v[2:3], v[41:42], v[2:3], v[85:86]
	v_fma_f64 v[41:42], v[43:44], v[11:12], -v[87:88]
	v_fma_f64 v[11:12], v[45:46], v[11:12], v[13:14]
	v_fma_f64 v[13:14], v[47:48], v[15:16], -v[89:90]
	v_fma_f64 v[43:44], v[59:60], v[19:20], -v[91:92]
	v_fma_f64 v[15:16], v[49:50], v[15:16], v[17:18]
	v_fma_f64 v[17:18], v[61:62], v[19:20], v[21:22]
	v_fma_f64 v[19:20], v[63:64], v[23:24], -v[93:94]
	v_fma_f64 v[21:22], v[65:66], v[23:24], v[25:26]
	v_fma_f64 v[23:24], v[67:68], v[27:28], -v[95:96]
	v_fma_f64 v[25:26], v[69:70], v[27:28], v[29:30]
	v_fma_f64 v[27:28], v[79:80], v[35:36], -v[99:100]
	v_fma_f64 v[29:30], v[81:82], v[35:36], v[37:38]
	v_fma_f64 v[35:36], v[71:72], v[31:32], -v[97:98]
	v_fma_f64 v[31:32], v[73:74], v[31:32], v[33:34]
	v_add_f64 v[73:74], v[75:76], v[39:40]
	v_add_f64 v[79:80], v[77:78], v[2:3]
	v_add_f64 v[33:34], v[39:40], -v[41:42]
	v_add_f64 v[45:46], v[2:3], -v[11:12]
	v_add_f64 v[49:50], v[41:42], v[13:14]
	v_add_f64 v[69:70], v[39:40], v[43:44]
	;; [unrolled: 1-line block ×4, first 2 shown]
	v_add_f64 v[37:38], v[43:44], -v[13:14]
	v_add_f64 v[47:48], v[17:18], -v[15:16]
	;; [unrolled: 1-line block ×6, first 2 shown]
	v_add_f64 v[85:86], v[19:20], v[27:28]
	v_add_f64 v[87:88], v[21:22], v[29:30]
	;; [unrolled: 1-line block ×4, first 2 shown]
	v_add_f64 v[39:40], v[41:42], -v[39:40]
	v_add_f64 v[2:3], v[11:12], -v[2:3]
	;; [unrolled: 1-line block ×12, first 2 shown]
	v_add_f64 v[109:110], v[4:5], v[19:20]
	v_add_f64 v[111:112], v[6:7], v[21:22]
	v_fma_f64 v[49:50], v[49:50], -0.5, v[75:76]
	v_fma_f64 v[59:60], v[59:60], -0.5, v[77:78]
	v_fma_f64 v[69:70], v[69:70], -0.5, v[75:76]
	v_fma_f64 v[71:72], v[71:72], -0.5, v[77:78]
	v_fma_f64 v[85:86], v[85:86], -0.5, v[4:5]
	v_fma_f64 v[87:88], v[87:88], -0.5, v[6:7]
	v_fma_f64 v[4:5], v[91:92], -0.5, v[4:5]
	v_fma_f64 v[6:7], v[93:94], -0.5, v[6:7]
	v_add_f64 v[19:20], v[19:20], -v[23:24]
	v_add_f64 v[21:22], v[21:22], -v[25:26]
	;; [unrolled: 1-line block ×4, first 2 shown]
	v_add_f64 v[33:34], v[33:34], v[37:38]
	v_add_f64 v[45:46], v[45:46], v[47:48]
	;; [unrolled: 1-line block ×10, first 2 shown]
	v_fma_f64 v[25:26], v[61:62], s[8:9], v[49:50]
	v_fma_f64 v[81:82], v[65:66], s[14:15], v[59:60]
	;; [unrolled: 1-line block ×16, first 2 shown]
	v_add_f64 v[75:76], v[19:20], v[75:76]
	v_add_f64 v[77:78], v[21:22], v[77:78]
	;; [unrolled: 1-line block ×6, first 2 shown]
	v_fma_f64 v[21:22], v[63:64], s[0:1], v[25:26]
	v_fma_f64 v[23:24], v[67:68], s[6:7], v[81:82]
	v_fma_f64 v[25:26], v[63:64], s[6:7], v[49:50]
	v_fma_f64 v[31:32], v[67:68], s[0:1], v[59:60]
	v_fma_f64 v[49:50], v[61:62], s[0:1], v[83:84]
	v_fma_f64 v[59:60], v[65:66], s[6:7], v[89:90]
	v_fma_f64 v[61:62], v[61:62], s[6:7], v[69:70]
	v_fma_f64 v[63:64], v[65:66], s[0:1], v[71:72]
	v_fma_f64 v[65:66], v[103:104], s[0:1], v[91:92]
	v_fma_f64 v[67:68], v[107:108], s[6:7], v[93:94]
	v_fma_f64 v[69:70], v[103:104], s[6:7], v[85:86]
	v_fma_f64 v[71:72], v[101:102], s[0:1], v[95:96]
	v_fma_f64 v[81:82], v[105:106], s[6:7], v[97:98]
	v_fma_f64 v[83:84], v[107:108], s[0:1], v[87:88]
	v_fma_f64 v[85:86], v[101:102], s[6:7], v[4:5]
	v_fma_f64 v[87:88], v[105:106], s[0:1], v[6:7]
	v_and_b32_e32 v35, 0xffff, v0
	v_and_b32_e32 v89, 0xffff, v1
	v_add_f64 v[0:1], v[13:14], v[43:44]
	v_add_f64 v[2:3], v[11:12], v[17:18]
	;; [unrolled: 1-line block ×4, first 2 shown]
	v_fma_f64 v[16:17], v[33:34], s[4:5], v[21:22]
	v_fma_f64 v[18:19], v[45:46], s[4:5], v[23:24]
	;; [unrolled: 1-line block ×16, first 2 shown]
	v_mad_u32_u24 v11, 0x320, v35, 0
	v_mad_u32_u24 v28, 0x320, v89, 0
	v_cmp_gt_u32_e64 s0, 50, v54
                                        ; implicit-def: $vgpr34_vgpr35
                                        ; implicit-def: $vgpr30_vgpr31
	v_add3_u32 v9, v11, v9, v8
	v_add3_u32 v8, v28, v10, v8
	ds_write_b128 v9, v[0:3]
	ds_write_b128 v9, v[16:19] offset:160
	ds_write_b128 v9, v[4:7] offset:320
	;; [unrolled: 1-line block ×4, first 2 shown]
	ds_write_b128 v8, v[36:39]
	ds_write_b128 v8, v[48:51] offset:160
	ds_write_b128 v8, v[44:47] offset:320
	;; [unrolled: 1-line block ×4, first 2 shown]
	s_waitcnt lgkmcnt(0)
	s_barrier
	buffer_gl0_inv
                                        ; implicit-def: $vgpr10_vgpr11
	s_and_saveexec_b32 s1, s0
	s_cbranch_execz .LBB0_14
; %bb.13:
	ds_read_b128 v[0:3], v146
	ds_read_b128 v[16:19], v147 offset:800
	ds_read_b128 v[4:7], v147 offset:1600
	;; [unrolled: 1-line block ×12, first 2 shown]
.LBB0_14:
	s_or_b32 exec_lo, exec_lo, s1
	s_waitcnt lgkmcnt(0)
	s_barrier
	buffer_gl0_inv
	s_and_saveexec_b32 s33, s0
	s_cbranch_execz .LBB0_16
; %bb.15:
	v_subrev_nc_u32_e32 v59, 50, v54
	v_mov_b32_e32 v60, 0
	s_mov_b32 s8, 0xebaa3ed8
	s_mov_b32 s20, 0x1ea71119
	;; [unrolled: 1-line block ×3, first 2 shown]
	v_cndmask_b32_e64 v59, v59, v54, s0
	s_mov_b32 s28, 0xe00740e9
	s_mov_b32 s6, 0x93053d00
	;; [unrolled: 1-line block ×4, first 2 shown]
	v_mul_i32_i24_e32 v59, 12, v59
	s_mov_b32 s5, 0xbfe7f3cc
	s_mov_b32 s29, 0x3fec55a7
	;; [unrolled: 1-line block ×4, first 2 shown]
	v_lshlrev_b64 v[59:60], 4, v[59:60]
	s_mov_b32 s14, 0x2ef20147
	s_mov_b32 s36, 0x42a4c3d2
	s_mov_b32 s16, 0x24c2f84
	s_mov_b32 s30, 0x4267c47c
	s_mov_b32 s18, 0x4bc48dbf
	v_add_co_u32 v79, s0, s12, v59
	v_add_co_ci_u32_e64 v80, s0, s13, v60, s0
	s_mov_b32 s0, 0xb2365da1
	s_mov_b32 s1, 0xbfd6b1d8
	;; [unrolled: 1-line block ×3, first 2 shown]
	s_clause 0x1
	global_load_dwordx4 v[61:64], v[79:80], off offset:720
	global_load_dwordx4 v[65:68], v[79:80], off offset:704
	s_mov_b32 s15, 0x3fedeba7
	s_mov_b32 s37, 0xbfea55e2
	;; [unrolled: 1-line block ×17, first 2 shown]
	s_waitcnt vmcnt(1)
	v_mul_f64 v[59:60], v[48:49], v[63:64]
	v_fma_f64 v[59:60], v[50:51], v[61:62], v[59:60]
	v_mul_f64 v[50:51], v[50:51], v[63:64]
	v_fma_f64 v[48:49], v[48:49], v[61:62], -v[50:51]
	s_clause 0x1
	global_load_dwordx4 v[61:64], v[79:80], off offset:736
	global_load_dwordx4 v[69:72], v[79:80], off offset:752
	s_waitcnt vmcnt(1)
	v_mul_f64 v[50:51], v[44:45], v[63:64]
	v_fma_f64 v[50:51], v[46:47], v[61:62], v[50:51]
	v_mul_f64 v[46:47], v[46:47], v[63:64]
	v_add_f64 v[135:136], v[59:60], v[50:51]
	v_fma_f64 v[44:45], v[44:45], v[61:62], -v[46:47]
	v_mul_f64 v[46:47], v[36:37], v[67:68]
	v_add_f64 v[137:138], v[59:60], -v[50:51]
	v_mul_f64 v[165:166], v[135:136], s[8:9]
	v_fma_f64 v[46:47], v[38:39], v[65:66], v[46:47]
	v_mul_f64 v[38:39], v[38:39], v[67:68]
	v_mul_f64 v[167:168], v[137:138], s[22:23]
	v_fma_f64 v[36:37], v[36:37], v[65:66], -v[38:39]
	s_waitcnt vmcnt(0)
	v_mul_f64 v[38:39], v[40:41], v[71:72]
	v_fma_f64 v[38:39], v[42:43], v[69:70], v[38:39]
	v_mul_f64 v[42:43], v[42:43], v[71:72]
	s_clause 0x1
	global_load_dwordx4 v[61:64], v[79:80], off offset:688
	global_load_dwordx4 v[71:74], v[79:80], off offset:672
	v_add_f64 v[131:132], v[46:47], v[38:39]
	v_fma_f64 v[40:41], v[40:41], v[69:70], -v[42:43]
	v_add_f64 v[133:134], v[46:47], -v[38:39]
	v_mul_f64 v[159:160], v[131:132], s[0:1]
	v_mul_f64 v[161:162], v[133:134], s[38:39]
	s_waitcnt vmcnt(1)
	v_mul_f64 v[42:43], v[20:21], v[63:64]
	v_fma_f64 v[42:43], v[22:23], v[61:62], v[42:43]
	v_mul_f64 v[22:23], v[22:23], v[63:64]
	v_fma_f64 v[61:62], v[20:21], v[61:62], -v[22:23]
	s_clause 0x1
	global_load_dwordx4 v[63:66], v[79:80], off offset:640
	global_load_dwordx4 v[20:23], v[79:80], off offset:656
	s_waitcnt vmcnt(1)
	v_mul_f64 v[67:68], v[16:17], v[65:66]
	v_fma_f64 v[67:68], v[18:19], v[63:64], v[67:68]
	v_mul_f64 v[18:19], v[18:19], v[65:66]
	v_fma_f64 v[69:70], v[16:17], v[63:64], -v[18:19]
	s_clause 0x1
	global_load_dwordx4 v[63:66], v[79:80], off offset:816
	global_load_dwordx4 v[75:78], v[79:80], off offset:800
	s_waitcnt vmcnt(1)
	v_mul_f64 v[16:17], v[32:33], v[65:66]
	v_mul_f64 v[18:19], v[34:35], v[65:66]
	v_fma_f64 v[16:17], v[34:35], v[63:64], v[16:17]
	v_fma_f64 v[18:19], v[32:33], v[63:64], -v[18:19]
	s_clause 0x1
	global_load_dwordx4 v[63:66], v[79:80], off offset:768
	global_load_dwordx4 v[79:82], v[79:80], off offset:784
	v_add_f64 v[91:92], v[69:70], v[18:19]
	s_waitcnt vmcnt(1)
	v_mul_f64 v[32:33], v[24:25], v[65:66]
	v_fma_f64 v[32:33], v[26:27], v[63:64], v[32:33]
	v_mul_f64 v[26:27], v[26:27], v[65:66]
	v_add_f64 v[127:128], v[42:43], v[32:33]
	v_fma_f64 v[24:25], v[24:25], v[63:64], -v[26:27]
	v_mul_f64 v[26:27], v[12:13], v[73:74]
	v_add_f64 v[129:130], v[42:43], -v[32:33]
	v_fma_f64 v[26:27], v[14:15], v[71:72], v[26:27]
	v_mul_f64 v[14:15], v[14:15], v[73:74]
	v_mul_f64 v[157:158], v[129:130], s[24:25]
	v_fma_f64 v[34:35], v[12:13], v[71:72], -v[14:15]
	s_waitcnt vmcnt(0)
	v_mul_f64 v[12:13], v[28:29], v[81:82]
	v_add_f64 v[71:72], v[69:70], -v[18:19]
	v_fma_f64 v[63:64], v[30:31], v[79:80], v[12:13]
	v_mul_f64 v[12:13], v[30:31], v[81:82]
	v_add_f64 v[123:124], v[26:27], v[63:64]
	v_fma_f64 v[28:29], v[28:29], v[79:80], -v[12:13]
	v_mul_f64 v[12:13], v[4:5], v[22:23]
	v_add_f64 v[125:126], v[26:27], -v[63:64]
	v_fma_f64 v[30:31], v[6:7], v[20:21], v[12:13]
	v_mul_f64 v[6:7], v[6:7], v[22:23]
	v_fma_f64 v[65:66], v[4:5], v[20:21], -v[6:7]
	v_mul_f64 v[4:5], v[8:9], v[77:78]
	v_fma_f64 v[20:21], v[10:11], v[75:76], v[4:5]
	v_mul_f64 v[4:5], v[10:11], v[77:78]
	v_fma_f64 v[22:23], v[8:9], v[75:76], -v[4:5]
	v_add_f64 v[4:5], v[67:68], v[16:17]
	v_mul_f64 v[6:7], v[4:5], s[6:7]
	v_mul_f64 v[8:9], v[4:5], s[4:5]
	;; [unrolled: 1-line block ×6, first 2 shown]
	v_fma_f64 v[75:76], v[71:72], s[18:19], v[6:7]
	v_fma_f64 v[6:7], v[71:72], s[40:41], v[6:7]
	;; [unrolled: 1-line block ×12, first 2 shown]
	v_add_f64 v[71:72], v[67:68], -v[16:17]
	v_add_f64 v[119:120], v[2:3], v[75:76]
	v_add_f64 v[75:76], v[65:66], -v[22:23]
	v_add_f64 v[149:150], v[2:3], v[77:78]
	v_add_f64 v[153:154], v[2:3], v[8:9]
	;; [unrolled: 1-line block ×6, first 2 shown]
	v_mul_f64 v[85:86], v[71:72], s[38:39]
	v_mul_f64 v[73:74], v[71:72], s[40:41]
	;; [unrolled: 1-line block ×6, first 2 shown]
	v_fma_f64 v[103:104], v[91:92], s[0:1], v[85:86]
	v_fma_f64 v[85:86], v[91:92], s[0:1], -v[85:86]
	v_fma_f64 v[93:94], v[91:92], s[6:7], v[73:74]
	v_fma_f64 v[99:100], v[91:92], s[6:7], -v[73:74]
	;; [unrolled: 2-line block ×6, first 2 shown]
	v_add_f64 v[71:72], v[2:3], v[67:68]
	v_add_f64 v[73:74], v[0:1], v[69:70]
	v_add_f64 v[89:90], v[2:3], v[79:80]
	v_add_f64 v[67:68], v[2:3], v[97:98]
	v_add_f64 v[97:98], v[30:31], -v[20:21]
	v_add_f64 v[87:88], v[0:1], v[103:104]
	v_add_f64 v[91:92], v[0:1], v[85:86]
	;; [unrolled: 1-line block ×16, first 2 shown]
	v_add_f64 v[103:104], v[34:35], -v[28:29]
	v_mul_f64 v[10:11], v[123:124], s[4:5]
	v_add_f64 v[101:102], v[2:3], v[12:13]
	v_mul_f64 v[8:9], v[97:98], s[42:43]
	v_add_f64 v[105:106], v[34:35], v[28:29]
	v_add_f64 v[107:108], v[61:62], -v[24:25]
	v_add_f64 v[30:31], v[71:72], v[30:31]
	v_add_f64 v[65:66], v[73:74], v[65:66]
	v_mul_f64 v[4:5], v[95:96], s[28:29]
	v_fma_f64 v[12:13], v[103:104], s[16:17], v[10:11]
	v_fma_f64 v[2:3], v[77:78], s[28:29], v[8:9]
	v_add_f64 v[26:27], v[30:31], v[26:27]
	v_add_f64 v[30:31], v[65:66], v[34:35]
	v_fma_f64 v[0:1], v[75:76], s[30:31], v[4:5]
	v_fma_f64 v[4:5], v[75:76], s[42:43], v[4:5]
	v_add_f64 v[2:3], v[2:3], v[121:122]
	v_add_f64 v[121:122], v[48:49], v[44:45]
	;; [unrolled: 1-line block ×6, first 2 shown]
	v_fma_f64 v[6:7], v[77:78], s[28:29], -v[8:9]
	v_fma_f64 v[8:9], v[103:104], s[34:35], v[10:11]
	v_fma_f64 v[10:11], v[121:122], s[8:9], -v[167:168]
	v_add_f64 v[26:27], v[26:27], v[46:47]
	v_add_f64 v[30:31], v[30:31], v[36:37]
	v_add_f64 v[0:1], v[12:13], v[0:1]
	v_mul_f64 v[12:13], v[125:126], s[34:35]
	v_add_f64 v[6:7], v[6:7], v[143:144]
	v_add_f64 v[4:5], v[8:9], v[4:5]
	v_mul_f64 v[143:144], v[123:124], s[20:21]
	v_add_f64 v[26:27], v[26:27], v[59:60]
	v_add_f64 v[30:31], v[30:31], v[48:49]
	v_fma_f64 v[14:15], v[105:106], s[4:5], v[12:13]
	v_fma_f64 v[8:9], v[105:106], s[4:5], -v[12:13]
	v_mul_f64 v[12:13], v[95:96], s[8:9]
	v_add_f64 v[26:27], v[26:27], v[50:51]
	v_add_f64 v[30:31], v[30:31], v[44:45]
	;; [unrolled: 1-line block ×3, first 2 shown]
	v_mul_f64 v[14:15], v[127:128], s[20:21]
	v_add_f64 v[6:7], v[8:9], v[6:7]
	v_add_f64 v[26:27], v[26:27], v[38:39]
	;; [unrolled: 1-line block ×3, first 2 shown]
	v_fma_f64 v[109:110], v[107:108], s[36:37], v[14:15]
	v_fma_f64 v[8:9], v[107:108], s[24:25], v[14:15]
	v_mul_f64 v[14:15], v[97:98], s[22:23]
	v_add_f64 v[26:27], v[26:27], v[32:33]
	v_add_f64 v[0:1], v[109:110], v[0:1]
	;; [unrolled: 1-line block ×6, first 2 shown]
	v_fma_f64 v[115:116], v[109:110], s[20:21], v[157:158]
	v_fma_f64 v[8:9], v[109:110], s[20:21], -v[157:158]
	v_add_f64 v[24:25], v[24:25], v[28:29]
	v_add_f64 v[20:21], v[26:27], v[20:21]
	;; [unrolled: 1-line block ×3, first 2 shown]
	v_add_f64 v[115:116], v[36:37], -v[40:41]
	v_add_f64 v[6:7], v[8:9], v[6:7]
	v_add_f64 v[22:23], v[24:25], v[22:23]
	;; [unrolled: 1-line block ×3, first 2 shown]
	v_fma_f64 v[117:118], v[115:116], s[14:15], v[159:160]
	v_fma_f64 v[8:9], v[115:116], s[38:39], v[159:160]
	v_add_f64 v[18:19], v[22:23], v[18:19]
	v_add_f64 v[0:1], v[117:118], v[0:1]
	;; [unrolled: 1-line block ×4, first 2 shown]
	v_fma_f64 v[119:120], v[117:118], s[0:1], v[161:162]
	v_fma_f64 v[8:9], v[117:118], s[0:1], -v[161:162]
	v_add_f64 v[163:164], v[119:120], v[2:3]
	v_add_f64 v[119:120], v[48:49], -v[44:45]
	v_add_f64 v[8:9], v[8:9], v[6:7]
	v_fma_f64 v[6:7], v[119:120], s[22:23], v[165:166]
	v_fma_f64 v[2:3], v[119:120], s[26:27], v[165:166]
	v_mul_f64 v[165:166], v[135:136], s[0:1]
	v_add_f64 v[6:7], v[6:7], v[4:5]
	v_add_f64 v[4:5], v[10:11], v[8:9]
	v_fma_f64 v[8:9], v[75:76], s[26:27], v[12:13]
	v_fma_f64 v[10:11], v[77:78], s[8:9], v[14:15]
	;; [unrolled: 1-line block ×3, first 2 shown]
	v_fma_f64 v[14:15], v[77:78], s[8:9], -v[14:15]
	v_add_f64 v[2:3], v[2:3], v[0:1]
	v_fma_f64 v[0:1], v[121:122], s[8:9], v[167:168]
	v_mul_f64 v[167:168], v[137:138], s[38:39]
	v_add_f64 v[8:9], v[8:9], v[149:150]
	v_fma_f64 v[149:150], v[103:104], s[24:25], v[143:144]
	v_add_f64 v[10:11], v[10:11], v[151:152]
	v_add_f64 v[12:13], v[12:13], v[153:154]
	v_fma_f64 v[143:144], v[103:104], s[36:37], v[143:144]
	v_add_f64 v[14:15], v[14:15], v[155:156]
	v_add_f64 v[0:1], v[0:1], v[163:164]
	;; [unrolled: 1-line block ×3, first 2 shown]
	v_mul_f64 v[149:150], v[125:126], s[36:37]
	v_add_f64 v[12:13], v[143:144], v[12:13]
	v_fma_f64 v[151:152], v[105:106], s[20:21], v[149:150]
	v_fma_f64 v[143:144], v[105:106], s[20:21], -v[149:150]
	v_fma_f64 v[149:150], v[121:122], s[0:1], -v[167:168]
	v_add_f64 v[10:11], v[151:152], v[10:11]
	v_mul_f64 v[151:152], v[127:128], s[6:7]
	v_add_f64 v[14:15], v[143:144], v[14:15]
	v_fma_f64 v[157:158], v[107:108], s[40:41], v[151:152]
	v_fma_f64 v[143:144], v[107:108], s[18:19], v[151:152]
	v_add_f64 v[8:9], v[157:158], v[8:9]
	v_mul_f64 v[157:158], v[129:130], s[18:19]
	v_add_f64 v[12:13], v[143:144], v[12:13]
	v_fma_f64 v[159:160], v[109:110], s[6:7], v[157:158]
	v_fma_f64 v[143:144], v[109:110], s[6:7], -v[157:158]
	v_add_f64 v[10:11], v[159:160], v[10:11]
	v_mul_f64 v[159:160], v[131:132], s[28:29]
	v_add_f64 v[14:15], v[143:144], v[14:15]
	v_fma_f64 v[161:162], v[115:116], s[30:31], v[159:160]
	v_fma_f64 v[143:144], v[115:116], s[42:43], v[159:160]
	v_add_f64 v[8:9], v[161:162], v[8:9]
	v_mul_f64 v[161:162], v[133:134], s[42:43]
	v_add_f64 v[12:13], v[143:144], v[12:13]
	v_fma_f64 v[143:144], v[117:118], s[28:29], -v[161:162]
	v_fma_f64 v[163:164], v[117:118], s[28:29], v[161:162]
	v_add_f64 v[143:144], v[143:144], v[14:15]
	v_fma_f64 v[14:15], v[119:120], s[38:39], v[165:166]
	v_add_f64 v[163:164], v[163:164], v[10:11]
	;; [unrolled: 2-line block ×3, first 2 shown]
	v_add_f64 v[12:13], v[149:150], v[143:144]
	v_mul_f64 v[143:144], v[95:96], s[20:21]
	v_add_f64 v[10:11], v[10:11], v[8:9]
	v_fma_f64 v[8:9], v[121:122], s[0:1], v[167:168]
	v_fma_f64 v[149:150], v[75:76], s[36:37], v[143:144]
	;; [unrolled: 1-line block ×3, first 2 shown]
	v_add_f64 v[8:9], v[8:9], v[163:164]
	v_add_f64 v[141:142], v[149:150], v[141:142]
	v_mul_f64 v[149:150], v[97:98], s[36:37]
	v_add_f64 v[16:17], v[16:17], v[67:68]
	v_fma_f64 v[151:152], v[77:78], s[20:21], -v[149:150]
	v_fma_f64 v[22:23], v[77:78], s[20:21], v[149:150]
	v_add_f64 v[139:140], v[151:152], v[139:140]
	v_mul_f64 v[151:152], v[123:124], s[8:9]
	v_add_f64 v[22:23], v[22:23], v[69:70]
	v_fma_f64 v[153:154], v[103:104], s[26:27], v[151:152]
	v_fma_f64 v[24:25], v[103:104], s[22:23], v[151:152]
	v_add_f64 v[141:142], v[153:154], v[141:142]
	v_mul_f64 v[153:154], v[125:126], s[26:27]
	v_add_f64 v[16:17], v[24:25], v[16:17]
	v_fma_f64 v[155:156], v[105:106], s[8:9], -v[153:154]
	v_fma_f64 v[26:27], v[105:106], s[8:9], v[153:154]
	v_add_f64 v[139:140], v[155:156], v[139:140]
	v_mul_f64 v[155:156], v[127:128], s[0:1]
	v_add_f64 v[22:23], v[26:27], v[22:23]
	v_fma_f64 v[157:158], v[107:108], s[38:39], v[155:156]
	v_fma_f64 v[28:29], v[107:108], s[14:15], v[155:156]
	;; [unrolled: 10-line block ×4, first 2 shown]
	v_add_f64 v[141:142], v[165:166], v[141:142]
	v_mul_f64 v[165:166], v[137:138], s[40:41]
	v_add_f64 v[24:25], v[28:29], v[16:17]
	v_fma_f64 v[167:168], v[121:122], s[6:7], -v[165:166]
	v_fma_f64 v[30:31], v[121:122], s[6:7], v[165:166]
	v_add_f64 v[139:140], v[167:168], v[139:140]
	v_mul_f64 v[167:168], v[95:96], s[0:1]
	v_add_f64 v[22:23], v[30:31], v[22:23]
	v_fma_f64 v[169:170], v[75:76], s[38:39], v[167:168]
	v_add_f64 v[113:114], v[169:170], v[113:114]
	v_mul_f64 v[169:170], v[97:98], s[38:39]
	v_fma_f64 v[171:172], v[77:78], s[0:1], -v[169:170]
	v_add_f64 v[111:112], v[171:172], v[111:112]
	v_mul_f64 v[171:172], v[123:124], s[6:7]
	v_fma_f64 v[173:174], v[103:104], s[40:41], v[171:172]
	v_add_f64 v[113:114], v[173:174], v[113:114]
	v_mul_f64 v[173:174], v[125:126], s[40:41]
	v_fma_f64 v[175:176], v[105:106], s[6:7], -v[173:174]
	v_add_f64 v[111:112], v[175:176], v[111:112]
	v_mul_f64 v[175:176], v[127:128], s[4:5]
	;; [unrolled: 6-line block ×5, first 2 shown]
	v_mul_f64 v[95:96], v[95:96], s[4:5]
	v_fma_f64 v[189:190], v[75:76], s[40:41], v[187:188]
	v_add_f64 v[101:102], v[189:190], v[101:102]
	v_mul_f64 v[189:190], v[97:98], s[40:41]
	v_mul_f64 v[97:98], v[97:98], s[16:17]
	v_fma_f64 v[191:192], v[77:78], s[6:7], -v[189:190]
	v_add_f64 v[99:100], v[191:192], v[99:100]
	v_mul_f64 v[191:192], v[123:124], s[0:1]
	v_mul_f64 v[123:124], v[123:124], s[28:29]
	v_fma_f64 v[193:194], v[103:104], s[14:15], v[191:192]
	v_add_f64 v[101:102], v[193:194], v[101:102]
	v_mul_f64 v[193:194], v[125:126], s[14:15]
	v_mul_f64 v[125:126], v[125:126], s[42:43]
	v_fma_f64 v[195:196], v[105:106], s[0:1], -v[193:194]
	v_add_f64 v[99:100], v[195:196], v[99:100]
	v_mul_f64 v[195:196], v[127:128], s[28:29]
	;; [unrolled: 8-line block ×4, first 2 shown]
	v_mul_f64 v[135:136], v[135:136], s[20:21]
	v_fma_f64 v[205:206], v[119:120], s[34:35], v[203:204]
	v_add_f64 v[101:102], v[205:206], v[101:102]
	v_mul_f64 v[205:206], v[137:138], s[34:35]
	v_mul_f64 v[137:138], v[137:138], s[24:25]
	v_fma_f64 v[207:208], v[121:122], s[4:5], -v[205:206]
	v_add_f64 v[99:100], v[207:208], v[99:100]
	v_fma_f64 v[207:208], v[75:76], s[16:17], v[95:96]
	v_fma_f64 v[95:96], v[75:76], s[34:35], v[95:96]
	v_add_f64 v[93:94], v[207:208], v[93:94]
	v_add_f64 v[89:90], v[95:96], v[89:90]
	v_fma_f64 v[95:96], v[77:78], s[4:5], v[97:98]
	v_fma_f64 v[207:208], v[77:78], s[4:5], -v[97:98]
	v_fma_f64 v[97:98], v[121:122], s[20:21], v[137:138]
	v_add_f64 v[87:88], v[95:96], v[87:88]
	v_fma_f64 v[95:96], v[103:104], s[30:31], v[123:124]
	v_add_f64 v[91:92], v[207:208], v[91:92]
	v_fma_f64 v[207:208], v[103:104], s[42:43], v[123:124]
	v_add_f64 v[89:90], v[95:96], v[89:90]
	v_fma_f64 v[95:96], v[105:106], s[28:29], v[125:126]
	v_add_f64 v[93:94], v[207:208], v[93:94]
	v_fma_f64 v[207:208], v[105:106], s[28:29], -v[125:126]
	v_add_f64 v[87:88], v[95:96], v[87:88]
	v_fma_f64 v[95:96], v[107:108], s[22:23], v[127:128]
	v_add_f64 v[91:92], v[207:208], v[91:92]
	v_fma_f64 v[207:208], v[107:108], s[26:27], v[127:128]
	;; [unrolled: 2-line block ×3, first 2 shown]
	v_add_f64 v[93:94], v[207:208], v[93:94]
	v_fma_f64 v[207:208], v[109:110], s[8:9], -v[129:130]
	v_add_f64 v[87:88], v[95:96], v[87:88]
	v_fma_f64 v[95:96], v[115:116], s[40:41], v[131:132]
	v_add_f64 v[91:92], v[207:208], v[91:92]
	v_fma_f64 v[207:208], v[115:116], s[18:19], v[131:132]
	;; [unrolled: 2-line block ×3, first 2 shown]
	v_add_f64 v[93:94], v[207:208], v[93:94]
	v_fma_f64 v[207:208], v[117:118], s[6:7], -v[133:134]
	v_add_f64 v[87:88], v[95:96], v[87:88]
	v_fma_f64 v[95:96], v[119:120], s[36:37], v[135:136]
	v_add_f64 v[91:92], v[207:208], v[91:92]
	v_fma_f64 v[207:208], v[119:120], s[24:25], v[135:136]
	v_add_f64 v[87:88], v[97:98], v[87:88]
	v_add_f64 v[89:90], v[95:96], v[89:90]
	v_fma_f64 v[95:96], v[75:76], s[18:19], v[187:188]
	v_fma_f64 v[97:98], v[121:122], s[4:5], v[205:206]
	v_add_f64 v[93:94], v[207:208], v[93:94]
	v_fma_f64 v[207:208], v[121:122], s[20:21], -v[137:138]
	v_add_f64 v[85:86], v[95:96], v[85:86]
	v_fma_f64 v[95:96], v[77:78], s[6:7], v[189:190]
	v_add_f64 v[91:92], v[207:208], v[91:92]
	v_add_f64 v[83:84], v[95:96], v[83:84]
	v_fma_f64 v[95:96], v[103:104], s[38:39], v[191:192]
	v_add_f64 v[85:86], v[95:96], v[85:86]
	v_fma_f64 v[95:96], v[105:106], s[0:1], v[193:194]
	;; [unrolled: 2-line block ×7, first 2 shown]
	v_add_f64 v[83:84], v[97:98], v[83:84]
	v_add_f64 v[85:86], v[95:96], v[85:86]
	v_fma_f64 v[95:96], v[75:76], s[14:15], v[167:168]
	v_fma_f64 v[97:98], v[121:122], s[28:29], v[185:186]
	v_add_f64 v[81:82], v[95:96], v[81:82]
	v_fma_f64 v[95:96], v[77:78], s[0:1], v[169:170]
	v_add_f64 v[79:80], v[95:96], v[79:80]
	;; [unrolled: 2-line block ×9, first 2 shown]
	v_add_f64 v[81:82], v[95:96], v[81:82]
	ds_write_b128 v147, v[139:142] offset:800
	ds_write_b128 v147, v[111:114] offset:1600
	;; [unrolled: 1-line block ×11, first 2 shown]
	ds_write_b128 v146, v[18:21]
	ds_write_b128 v147, v[22:25] offset:9600
.LBB0_16:
	s_or_b32 exec_lo, exec_lo, s33
	s_waitcnt lgkmcnt(0)
	s_barrier
	buffer_gl0_inv
	ds_read_b128 v[4:7], v146
	v_sub_nc_u32_e32 v12, v145, v55
	s_add_u32 s1, s12, 0x2800
	s_addc_u32 s4, s13, 0
	s_mov_b32 s5, exec_lo
                                        ; implicit-def: $vgpr0_vgpr1
                                        ; implicit-def: $vgpr8_vgpr9
                                        ; implicit-def: $vgpr10_vgpr11
	v_cmpx_ne_u32_e32 0, v54
	s_xor_b32 s5, exec_lo, s5
	s_cbranch_execz .LBB0_18
; %bb.17:
	v_mov_b32_e32 v55, 0
	v_lshlrev_b64 v[0:1], 4, v[54:55]
	v_add_co_u32 v0, s0, s1, v0
	v_add_co_ci_u32_e64 v1, s0, s4, v1, s0
	global_load_dwordx4 v[13:16], v[0:1], off
	ds_read_b128 v[0:3], v12 offset:10400
	s_waitcnt lgkmcnt(0)
	v_add_f64 v[8:9], v[4:5], -v[0:1]
	v_add_f64 v[10:11], v[6:7], v[2:3]
	v_add_f64 v[2:3], v[6:7], -v[2:3]
	v_add_f64 v[0:1], v[4:5], v[0:1]
	v_mul_f64 v[6:7], v[8:9], 0.5
	v_mul_f64 v[4:5], v[10:11], 0.5
	;; [unrolled: 1-line block ×3, first 2 shown]
	s_waitcnt vmcnt(0)
	v_mul_f64 v[8:9], v[6:7], v[15:16]
	v_fma_f64 v[10:11], v[4:5], v[15:16], v[2:3]
	v_fma_f64 v[2:3], v[4:5], v[15:16], -v[2:3]
	v_fma_f64 v[17:18], v[0:1], 0.5, v[8:9]
	v_fma_f64 v[0:1], v[0:1], 0.5, -v[8:9]
	v_fma_f64 v[10:11], -v[13:14], v[6:7], v[10:11]
	v_fma_f64 v[2:3], -v[13:14], v[6:7], v[2:3]
	v_fma_f64 v[8:9], v[4:5], v[13:14], v[17:18]
	v_fma_f64 v[0:1], -v[4:5], v[13:14], v[0:1]
                                        ; implicit-def: $vgpr4_vgpr5
.LBB0_18:
	s_andn2_saveexec_b32 s0, s5
	s_cbranch_execz .LBB0_20
; %bb.19:
	ds_read_b64 v[13:14], v145 offset:5208
	s_waitcnt lgkmcnt(1)
	v_add_f64 v[8:9], v[4:5], v[6:7]
	v_add_f64 v[0:1], v[4:5], -v[6:7]
	v_mov_b32_e32 v10, 0
	v_mov_b32_e32 v11, 0
	;; [unrolled: 1-line block ×4, first 2 shown]
	s_waitcnt lgkmcnt(0)
	v_xor_b32_e32 v14, 0x80000000, v14
	ds_write_b64 v145, v[13:14] offset:5208
.LBB0_20:
	s_or_b32 exec_lo, exec_lo, s0
	v_mov_b32_e32 v59, 0
	ds_write2_b64 v146, v[8:9], v[10:11] offset1:1
	ds_write_b128 v12, v[0:3] offset:10400
	s_waitcnt lgkmcnt(2)
	v_lshlrev_b64 v[4:5], 4, v[58:59]
	v_add_nc_u32_e32 v58, 0x82, v54
	v_lshlrev_b64 v[13:14], 4, v[58:59]
	v_add_co_u32 v4, s0, s1, v4
	v_add_co_ci_u32_e64 v5, s0, s4, v5, s0
	v_add_nc_u32_e32 v58, 0xc3, v54
	v_add_co_u32 v13, s0, s1, v13
	global_load_dwordx4 v[4:7], v[4:5], off
	v_add_co_ci_u32_e64 v14, s0, s4, v14, s0
	v_lshlrev_b64 v[17:18], 4, v[58:59]
	v_add_nc_u32_e32 v58, 0x104, v54
	global_load_dwordx4 v[13:16], v[13:14], off
	ds_read_b128 v[0:3], v148
	ds_read_b128 v[8:11], v12 offset:9360
	v_add_co_u32 v17, s0, s1, v17
	v_add_co_ci_u32_e64 v18, s0, s4, v18, s0
	global_load_dwordx4 v[17:20], v[17:18], off
	s_waitcnt lgkmcnt(0)
	v_add_f64 v[21:22], v[0:1], -v[8:9]
	v_add_f64 v[23:24], v[2:3], v[10:11]
	v_add_f64 v[2:3], v[2:3], -v[10:11]
	v_add_f64 v[0:1], v[0:1], v[8:9]
	v_mul_f64 v[10:11], v[21:22], 0.5
	v_mul_f64 v[21:22], v[23:24], 0.5
	;; [unrolled: 1-line block ×3, first 2 shown]
	s_waitcnt vmcnt(2)
	v_mul_f64 v[8:9], v[10:11], v[6:7]
	v_fma_f64 v[23:24], v[21:22], v[6:7], v[2:3]
	v_fma_f64 v[2:3], v[21:22], v[6:7], -v[2:3]
	v_fma_f64 v[6:7], v[0:1], 0.5, v[8:9]
	v_fma_f64 v[0:1], v[0:1], 0.5, -v[8:9]
	v_fma_f64 v[8:9], -v[4:5], v[10:11], v[23:24]
	v_fma_f64 v[2:3], -v[4:5], v[10:11], v[2:3]
	v_lshlrev_b64 v[10:11], 4, v[58:59]
	v_fma_f64 v[6:7], v[21:22], v[4:5], v[6:7]
	v_fma_f64 v[0:1], -v[21:22], v[4:5], v[0:1]
	ds_write2_b64 v148, v[6:7], v[8:9] offset1:1
	ds_write_b128 v12, v[0:3] offset:9360
	v_add_co_u32 v8, s0, s1, v10
	ds_read_b128 v[0:3], v146 offset:2080
	ds_read_b128 v[4:7], v12 offset:8320
	v_add_co_ci_u32_e64 v9, s0, s4, v11, s0
	global_load_dwordx4 v[8:11], v[8:9], off
	s_waitcnt lgkmcnt(0)
	v_add_f64 v[21:22], v[0:1], -v[4:5]
	v_add_f64 v[23:24], v[2:3], v[6:7]
	v_add_f64 v[2:3], v[2:3], -v[6:7]
	v_add_f64 v[0:1], v[0:1], v[4:5]
	v_mul_f64 v[6:7], v[21:22], 0.5
	v_mul_f64 v[21:22], v[23:24], 0.5
	;; [unrolled: 1-line block ×3, first 2 shown]
	s_waitcnt vmcnt(2)
	v_mul_f64 v[4:5], v[6:7], v[15:16]
	v_fma_f64 v[23:24], v[21:22], v[15:16], v[2:3]
	v_fma_f64 v[2:3], v[21:22], v[15:16], -v[2:3]
	v_fma_f64 v[15:16], v[0:1], 0.5, v[4:5]
	v_fma_f64 v[0:1], v[0:1], 0.5, -v[4:5]
	v_fma_f64 v[4:5], -v[13:14], v[6:7], v[23:24]
	v_fma_f64 v[2:3], -v[13:14], v[6:7], v[2:3]
	v_fma_f64 v[6:7], v[21:22], v[13:14], v[15:16]
	v_fma_f64 v[0:1], -v[21:22], v[13:14], v[0:1]
	v_add_nc_u32_e32 v21, 0x800, v146
	ds_write2_b64 v21, v[6:7], v[4:5] offset0:4 offset1:5
	ds_write_b128 v12, v[0:3] offset:8320
	ds_read_b128 v[0:3], v146 offset:3120
	ds_read_b128 v[4:7], v12 offset:7280
	s_waitcnt lgkmcnt(0)
	v_add_f64 v[13:14], v[0:1], -v[4:5]
	v_add_f64 v[15:16], v[2:3], v[6:7]
	v_add_f64 v[2:3], v[2:3], -v[6:7]
	v_add_f64 v[0:1], v[0:1], v[4:5]
	v_mul_f64 v[6:7], v[13:14], 0.5
	v_mul_f64 v[13:14], v[15:16], 0.5
	;; [unrolled: 1-line block ×3, first 2 shown]
	s_waitcnt vmcnt(1)
	v_mul_f64 v[4:5], v[6:7], v[19:20]
	v_fma_f64 v[15:16], v[13:14], v[19:20], v[2:3]
	v_fma_f64 v[2:3], v[13:14], v[19:20], -v[2:3]
	v_fma_f64 v[19:20], v[0:1], 0.5, v[4:5]
	v_fma_f64 v[0:1], v[0:1], 0.5, -v[4:5]
	v_fma_f64 v[4:5], -v[17:18], v[6:7], v[15:16]
	v_fma_f64 v[2:3], -v[17:18], v[6:7], v[2:3]
	v_fma_f64 v[6:7], v[13:14], v[17:18], v[19:20]
	v_fma_f64 v[0:1], -v[13:14], v[17:18], v[0:1]
	ds_write2_b64 v21, v[6:7], v[4:5] offset0:134 offset1:135
	ds_write_b128 v12, v[0:3] offset:7280
	ds_read_b128 v[0:3], v146 offset:4160
	ds_read_b128 v[4:7], v12 offset:6240
	s_waitcnt lgkmcnt(0)
	v_add_f64 v[13:14], v[0:1], -v[4:5]
	v_add_f64 v[15:16], v[2:3], v[6:7]
	v_add_f64 v[2:3], v[2:3], -v[6:7]
	v_add_f64 v[0:1], v[0:1], v[4:5]
	v_mul_f64 v[6:7], v[13:14], 0.5
	v_mul_f64 v[13:14], v[15:16], 0.5
	;; [unrolled: 1-line block ×3, first 2 shown]
	s_waitcnt vmcnt(0)
	v_mul_f64 v[4:5], v[6:7], v[10:11]
	v_fma_f64 v[15:16], v[13:14], v[10:11], v[2:3]
	v_fma_f64 v[2:3], v[13:14], v[10:11], -v[2:3]
	v_fma_f64 v[10:11], v[0:1], 0.5, v[4:5]
	v_fma_f64 v[0:1], v[0:1], 0.5, -v[4:5]
	v_fma_f64 v[4:5], -v[8:9], v[6:7], v[15:16]
	v_fma_f64 v[2:3], -v[8:9], v[6:7], v[2:3]
	v_fma_f64 v[6:7], v[13:14], v[8:9], v[10:11]
	v_fma_f64 v[0:1], -v[13:14], v[8:9], v[0:1]
	v_add_nc_u32_e32 v8, 0x1000, v146
	ds_write2_b64 v8, v[6:7], v[4:5] offset0:8 offset1:9
	ds_write_b128 v12, v[0:3] offset:6240
	s_waitcnt lgkmcnt(0)
	s_barrier
	buffer_gl0_inv
	s_and_saveexec_b32 s0, vcc_lo
	s_cbranch_execz .LBB0_23
; %bb.21:
	v_mul_lo_u32 v0, s3, v56
	v_mul_lo_u32 v3, s2, v57
	v_mad_u64_u32 v[1:2], null, s2, v56, 0
	v_mov_b32_e32 v55, v59
	v_lshlrev_b64 v[11:12], 4, v[52:53]
	v_add_nc_u32_e32 v58, 0x41, v54
	v_lshlrev_b64 v[13:14], 4, v[54:55]
	v_add3_u32 v2, v2, v3, v0
	v_lshl_add_u32 v0, v54, 4, v145
	v_lshlrev_b64 v[15:16], 4, v[58:59]
	ds_read_b128 v[3:6], v0
	ds_read_b128 v[7:10], v0 offset:1040
	v_lshlrev_b64 v[1:2], 4, v[1:2]
	v_add_nc_u32_e32 v58, 0x82, v54
	v_add_co_u32 v1, vcc_lo, s10, v1
	v_add_co_ci_u32_e32 v2, vcc_lo, s11, v2, vcc_lo
	v_add_co_u32 v1, vcc_lo, v1, v11
	v_add_co_ci_u32_e32 v2, vcc_lo, v2, v12, vcc_lo
	;; [unrolled: 2-line block ×4, first 2 shown]
	v_lshlrev_b64 v[15:16], 4, v[58:59]
	v_add_nc_u32_e32 v58, 0xc3, v54
	s_waitcnt lgkmcnt(1)
	global_store_dwordx4 v[11:12], v[3:6], off
	s_waitcnt lgkmcnt(0)
	global_store_dwordx4 v[13:14], v[7:10], off
	ds_read_b128 v[3:6], v0 offset:2080
	ds_read_b128 v[7:10], v0 offset:3120
	v_lshlrev_b64 v[19:20], 4, v[58:59]
	v_add_nc_u32_e32 v58, 0x104, v54
	v_add_co_u32 v21, vcc_lo, v1, v15
	v_add_co_ci_u32_e32 v22, vcc_lo, v2, v16, vcc_lo
	ds_read_b128 v[11:14], v0 offset:4160
	ds_read_b128 v[15:18], v0 offset:5200
	v_lshlrev_b64 v[23:24], 4, v[58:59]
	v_add_nc_u32_e32 v58, 0x145, v54
	v_add_co_u32 v19, vcc_lo, v1, v19
	v_add_co_ci_u32_e32 v20, vcc_lo, v2, v20, vcc_lo
	v_lshlrev_b64 v[25:26], 4, v[58:59]
	v_add_nc_u32_e32 v58, 0x186, v54
	v_add_co_u32 v23, vcc_lo, v1, v23
	s_waitcnt lgkmcnt(3)
	global_store_dwordx4 v[21:22], v[3:6], off
	v_add_co_ci_u32_e32 v24, vcc_lo, v2, v24, vcc_lo
	v_lshlrev_b64 v[3:4], 4, v[58:59]
	v_add_nc_u32_e32 v58, 0x1c7, v54
	v_add_co_u32 v25, vcc_lo, v1, v25
	v_add_co_ci_u32_e32 v26, vcc_lo, v2, v26, vcc_lo
	v_lshlrev_b64 v[21:22], 4, v[58:59]
	v_add_nc_u32_e32 v58, 0x208, v54
	s_waitcnt lgkmcnt(2)
	global_store_dwordx4 v[19:20], v[7:10], off
	s_waitcnt lgkmcnt(1)
	global_store_dwordx4 v[23:24], v[11:14], off
	;; [unrolled: 2-line block ×3, first 2 shown]
	v_add_co_u32 v19, vcc_lo, v1, v3
	v_add_co_ci_u32_e32 v20, vcc_lo, v2, v4, vcc_lo
	ds_read_b128 v[3:6], v0 offset:6240
	ds_read_b128 v[7:10], v0 offset:7280
	;; [unrolled: 1-line block ×4, first 2 shown]
	v_lshlrev_b64 v[23:24], 4, v[58:59]
	v_add_nc_u32_e32 v58, 0x249, v54
	v_add_co_u32 v21, vcc_lo, v1, v21
	v_add_co_ci_u32_e32 v22, vcc_lo, v2, v22, vcc_lo
	v_lshlrev_b64 v[25:26], 4, v[58:59]
	v_add_co_u32 v23, vcc_lo, v1, v23
	v_add_co_ci_u32_e32 v24, vcc_lo, v2, v24, vcc_lo
	v_add_co_u32 v25, vcc_lo, v1, v25
	v_add_co_ci_u32_e32 v26, vcc_lo, v2, v26, vcc_lo
	v_cmp_eq_u32_e32 vcc_lo, 64, v54
	s_waitcnt lgkmcnt(3)
	global_store_dwordx4 v[19:20], v[3:6], off
	s_waitcnt lgkmcnt(2)
	global_store_dwordx4 v[21:22], v[7:10], off
	;; [unrolled: 2-line block ×4, first 2 shown]
	s_and_b32 exec_lo, exec_lo, vcc_lo
	s_cbranch_execz .LBB0_23
; %bb.22:
	ds_read_b128 v[3:6], v0 offset:9376
	v_add_co_u32 v0, vcc_lo, 0x2800, v1
	v_add_co_ci_u32_e32 v1, vcc_lo, 0, v2, vcc_lo
	s_waitcnt lgkmcnt(0)
	global_store_dwordx4 v[0:1], v[3:6], off offset:160
.LBB0_23:
	s_endpgm
	.section	.rodata,"a",@progbits
	.p2align	6, 0x0
	.amdhsa_kernel fft_rtc_fwd_len650_factors_10_5_13_wgs_195_tpt_65_dp_op_CI_CI_unitstride_sbrr_R2C_dirReg
		.amdhsa_group_segment_fixed_size 0
		.amdhsa_private_segment_fixed_size 0
		.amdhsa_kernarg_size 104
		.amdhsa_user_sgpr_count 6
		.amdhsa_user_sgpr_private_segment_buffer 1
		.amdhsa_user_sgpr_dispatch_ptr 0
		.amdhsa_user_sgpr_queue_ptr 0
		.amdhsa_user_sgpr_kernarg_segment_ptr 1
		.amdhsa_user_sgpr_dispatch_id 0
		.amdhsa_user_sgpr_flat_scratch_init 0
		.amdhsa_user_sgpr_private_segment_size 0
		.amdhsa_wavefront_size32 1
		.amdhsa_uses_dynamic_stack 0
		.amdhsa_system_sgpr_private_segment_wavefront_offset 0
		.amdhsa_system_sgpr_workgroup_id_x 1
		.amdhsa_system_sgpr_workgroup_id_y 0
		.amdhsa_system_sgpr_workgroup_id_z 0
		.amdhsa_system_sgpr_workgroup_info 0
		.amdhsa_system_vgpr_workitem_id 0
		.amdhsa_next_free_vgpr 209
		.amdhsa_next_free_sgpr 44
		.amdhsa_reserve_vcc 1
		.amdhsa_reserve_flat_scratch 0
		.amdhsa_float_round_mode_32 0
		.amdhsa_float_round_mode_16_64 0
		.amdhsa_float_denorm_mode_32 3
		.amdhsa_float_denorm_mode_16_64 3
		.amdhsa_dx10_clamp 1
		.amdhsa_ieee_mode 1
		.amdhsa_fp16_overflow 0
		.amdhsa_workgroup_processor_mode 1
		.amdhsa_memory_ordered 1
		.amdhsa_forward_progress 0
		.amdhsa_shared_vgpr_count 0
		.amdhsa_exception_fp_ieee_invalid_op 0
		.amdhsa_exception_fp_denorm_src 0
		.amdhsa_exception_fp_ieee_div_zero 0
		.amdhsa_exception_fp_ieee_overflow 0
		.amdhsa_exception_fp_ieee_underflow 0
		.amdhsa_exception_fp_ieee_inexact 0
		.amdhsa_exception_int_div_zero 0
	.end_amdhsa_kernel
	.text
.Lfunc_end0:
	.size	fft_rtc_fwd_len650_factors_10_5_13_wgs_195_tpt_65_dp_op_CI_CI_unitstride_sbrr_R2C_dirReg, .Lfunc_end0-fft_rtc_fwd_len650_factors_10_5_13_wgs_195_tpt_65_dp_op_CI_CI_unitstride_sbrr_R2C_dirReg
                                        ; -- End function
	.section	.AMDGPU.csdata,"",@progbits
; Kernel info:
; codeLenInByte = 11024
; NumSgprs: 46
; NumVgprs: 209
; ScratchSize: 0
; MemoryBound: 0
; FloatMode: 240
; IeeeMode: 1
; LDSByteSize: 0 bytes/workgroup (compile time only)
; SGPRBlocks: 5
; VGPRBlocks: 26
; NumSGPRsForWavesPerEU: 46
; NumVGPRsForWavesPerEU: 209
; Occupancy: 4
; WaveLimiterHint : 1
; COMPUTE_PGM_RSRC2:SCRATCH_EN: 0
; COMPUTE_PGM_RSRC2:USER_SGPR: 6
; COMPUTE_PGM_RSRC2:TRAP_HANDLER: 0
; COMPUTE_PGM_RSRC2:TGID_X_EN: 1
; COMPUTE_PGM_RSRC2:TGID_Y_EN: 0
; COMPUTE_PGM_RSRC2:TGID_Z_EN: 0
; COMPUTE_PGM_RSRC2:TIDIG_COMP_CNT: 0
	.text
	.p2alignl 6, 3214868480
	.fill 48, 4, 3214868480
	.type	__hip_cuid_36a4a12e3c8bd234,@object ; @__hip_cuid_36a4a12e3c8bd234
	.section	.bss,"aw",@nobits
	.globl	__hip_cuid_36a4a12e3c8bd234
__hip_cuid_36a4a12e3c8bd234:
	.byte	0                               ; 0x0
	.size	__hip_cuid_36a4a12e3c8bd234, 1

	.ident	"AMD clang version 19.0.0git (https://github.com/RadeonOpenCompute/llvm-project roc-6.4.0 25133 c7fe45cf4b819c5991fe208aaa96edf142730f1d)"
	.section	".note.GNU-stack","",@progbits
	.addrsig
	.addrsig_sym __hip_cuid_36a4a12e3c8bd234
	.amdgpu_metadata
---
amdhsa.kernels:
  - .args:
      - .actual_access:  read_only
        .address_space:  global
        .offset:         0
        .size:           8
        .value_kind:     global_buffer
      - .offset:         8
        .size:           8
        .value_kind:     by_value
      - .actual_access:  read_only
        .address_space:  global
        .offset:         16
        .size:           8
        .value_kind:     global_buffer
      - .actual_access:  read_only
        .address_space:  global
        .offset:         24
        .size:           8
        .value_kind:     global_buffer
      - .actual_access:  read_only
        .address_space:  global
        .offset:         32
        .size:           8
        .value_kind:     global_buffer
      - .offset:         40
        .size:           8
        .value_kind:     by_value
      - .actual_access:  read_only
        .address_space:  global
        .offset:         48
        .size:           8
        .value_kind:     global_buffer
      - .actual_access:  read_only
        .address_space:  global
        .offset:         56
        .size:           8
        .value_kind:     global_buffer
      - .offset:         64
        .size:           4
        .value_kind:     by_value
      - .actual_access:  read_only
        .address_space:  global
        .offset:         72
        .size:           8
        .value_kind:     global_buffer
      - .actual_access:  read_only
        .address_space:  global
        .offset:         80
        .size:           8
        .value_kind:     global_buffer
      - .actual_access:  read_only
        .address_space:  global
        .offset:         88
        .size:           8
        .value_kind:     global_buffer
      - .actual_access:  write_only
        .address_space:  global
        .offset:         96
        .size:           8
        .value_kind:     global_buffer
    .group_segment_fixed_size: 0
    .kernarg_segment_align: 8
    .kernarg_segment_size: 104
    .language:       OpenCL C
    .language_version:
      - 2
      - 0
    .max_flat_workgroup_size: 195
    .name:           fft_rtc_fwd_len650_factors_10_5_13_wgs_195_tpt_65_dp_op_CI_CI_unitstride_sbrr_R2C_dirReg
    .private_segment_fixed_size: 0
    .sgpr_count:     46
    .sgpr_spill_count: 0
    .symbol:         fft_rtc_fwd_len650_factors_10_5_13_wgs_195_tpt_65_dp_op_CI_CI_unitstride_sbrr_R2C_dirReg.kd
    .uniform_work_group_size: 1
    .uses_dynamic_stack: false
    .vgpr_count:     209
    .vgpr_spill_count: 0
    .wavefront_size: 32
    .workgroup_processor_mode: 1
amdhsa.target:   amdgcn-amd-amdhsa--gfx1030
amdhsa.version:
  - 1
  - 2
...

	.end_amdgpu_metadata
